;; amdgpu-corpus repo=ROCm/rocFFT kind=compiled arch=gfx906 opt=O3
	.text
	.amdgcn_target "amdgcn-amd-amdhsa--gfx906"
	.amdhsa_code_object_version 6
	.protected	fft_rtc_back_len1694_factors_11_2_11_7_wgs_154_tpt_154_halfLds_half_op_CI_CI_unitstride_sbrr_dirReg ; -- Begin function fft_rtc_back_len1694_factors_11_2_11_7_wgs_154_tpt_154_halfLds_half_op_CI_CI_unitstride_sbrr_dirReg
	.globl	fft_rtc_back_len1694_factors_11_2_11_7_wgs_154_tpt_154_halfLds_half_op_CI_CI_unitstride_sbrr_dirReg
	.p2align	8
	.type	fft_rtc_back_len1694_factors_11_2_11_7_wgs_154_tpt_154_halfLds_half_op_CI_CI_unitstride_sbrr_dirReg,@function
fft_rtc_back_len1694_factors_11_2_11_7_wgs_154_tpt_154_halfLds_half_op_CI_CI_unitstride_sbrr_dirReg: ; @fft_rtc_back_len1694_factors_11_2_11_7_wgs_154_tpt_154_halfLds_half_op_CI_CI_unitstride_sbrr_dirReg
; %bb.0:
	s_load_dwordx4 s[12:15], s[4:5], 0x58
	s_load_dwordx4 s[8:11], s[4:5], 0x0
	;; [unrolled: 1-line block ×3, first 2 shown]
	v_mul_u32_u24_e32 v1, 0x1aa, v0
	v_mov_b32_e32 v7, 0
	v_mov_b32_e32 v5, 0
	s_waitcnt lgkmcnt(0)
	v_cmp_lt_u64_e64 s[0:1], s[10:11], 2
	v_add_u32_sdwa v9, s6, v1 dst_sel:DWORD dst_unused:UNUSED_PAD src0_sel:DWORD src1_sel:WORD_1
	v_mov_b32_e32 v10, v7
	s_and_b64 vcc, exec, s[0:1]
	v_mov_b32_e32 v6, 0
	s_cbranch_vccnz .LBB0_8
; %bb.1:
	s_load_dwordx2 s[0:1], s[4:5], 0x10
	s_add_u32 s2, s18, 8
	s_addc_u32 s3, s19, 0
	s_add_u32 s6, s16, 8
	s_addc_u32 s7, s17, 0
	v_mov_b32_e32 v5, 0
	s_waitcnt lgkmcnt(0)
	s_add_u32 s20, s0, 8
	v_mov_b32_e32 v6, 0
	v_mov_b32_e32 v1, v5
	s_addc_u32 s21, s1, 0
	s_mov_b64 s[22:23], 1
	v_mov_b32_e32 v2, v6
.LBB0_2:                                ; =>This Inner Loop Header: Depth=1
	s_load_dwordx2 s[24:25], s[20:21], 0x0
                                        ; implicit-def: $vgpr3_vgpr4
	s_waitcnt lgkmcnt(0)
	v_or_b32_e32 v8, s25, v10
	v_cmp_ne_u64_e32 vcc, 0, v[7:8]
	s_and_saveexec_b64 s[0:1], vcc
	s_xor_b64 s[26:27], exec, s[0:1]
	s_cbranch_execz .LBB0_4
; %bb.3:                                ;   in Loop: Header=BB0_2 Depth=1
	v_cvt_f32_u32_e32 v3, s24
	v_cvt_f32_u32_e32 v4, s25
	s_sub_u32 s0, 0, s24
	s_subb_u32 s1, 0, s25
	v_mac_f32_e32 v3, 0x4f800000, v4
	v_rcp_f32_e32 v3, v3
	v_mul_f32_e32 v3, 0x5f7ffffc, v3
	v_mul_f32_e32 v4, 0x2f800000, v3
	v_trunc_f32_e32 v4, v4
	v_mac_f32_e32 v3, 0xcf800000, v4
	v_cvt_u32_f32_e32 v4, v4
	v_cvt_u32_f32_e32 v3, v3
	v_mul_lo_u32 v8, s0, v4
	v_mul_hi_u32 v11, s0, v3
	v_mul_lo_u32 v13, s1, v3
	v_mul_lo_u32 v12, s0, v3
	v_add_u32_e32 v8, v11, v8
	v_add_u32_e32 v8, v8, v13
	v_mul_hi_u32 v11, v3, v12
	v_mul_lo_u32 v13, v3, v8
	v_mul_hi_u32 v15, v3, v8
	v_mul_hi_u32 v14, v4, v12
	v_mul_lo_u32 v12, v4, v12
	v_mul_hi_u32 v16, v4, v8
	v_add_co_u32_e32 v11, vcc, v11, v13
	v_addc_co_u32_e32 v13, vcc, 0, v15, vcc
	v_mul_lo_u32 v8, v4, v8
	v_add_co_u32_e32 v11, vcc, v11, v12
	v_addc_co_u32_e32 v11, vcc, v13, v14, vcc
	v_addc_co_u32_e32 v12, vcc, 0, v16, vcc
	v_add_co_u32_e32 v8, vcc, v11, v8
	v_addc_co_u32_e32 v11, vcc, 0, v12, vcc
	v_add_co_u32_e32 v3, vcc, v3, v8
	v_addc_co_u32_e32 v4, vcc, v4, v11, vcc
	v_mul_lo_u32 v8, s0, v4
	v_mul_hi_u32 v11, s0, v3
	v_mul_lo_u32 v12, s1, v3
	v_mul_lo_u32 v13, s0, v3
	v_add_u32_e32 v8, v11, v8
	v_add_u32_e32 v8, v8, v12
	v_mul_lo_u32 v14, v3, v8
	v_mul_hi_u32 v15, v3, v13
	v_mul_hi_u32 v16, v3, v8
	v_mul_hi_u32 v12, v4, v13
	v_mul_lo_u32 v13, v4, v13
	v_mul_hi_u32 v11, v4, v8
	v_add_co_u32_e32 v14, vcc, v15, v14
	v_addc_co_u32_e32 v15, vcc, 0, v16, vcc
	v_mul_lo_u32 v8, v4, v8
	v_add_co_u32_e32 v13, vcc, v14, v13
	v_addc_co_u32_e32 v12, vcc, v15, v12, vcc
	v_addc_co_u32_e32 v11, vcc, 0, v11, vcc
	v_add_co_u32_e32 v8, vcc, v12, v8
	v_addc_co_u32_e32 v11, vcc, 0, v11, vcc
	v_add_co_u32_e32 v8, vcc, v3, v8
	v_addc_co_u32_e32 v11, vcc, v4, v11, vcc
	v_mad_u64_u32 v[3:4], s[0:1], v9, v11, 0
	v_mul_hi_u32 v12, v9, v8
	v_add_co_u32_e32 v13, vcc, v12, v3
	v_addc_co_u32_e32 v14, vcc, 0, v4, vcc
	v_mad_u64_u32 v[3:4], s[0:1], v10, v8, 0
	v_mad_u64_u32 v[11:12], s[0:1], v10, v11, 0
	v_add_co_u32_e32 v3, vcc, v13, v3
	v_addc_co_u32_e32 v3, vcc, v14, v4, vcc
	v_addc_co_u32_e32 v4, vcc, 0, v12, vcc
	v_add_co_u32_e32 v8, vcc, v3, v11
	v_addc_co_u32_e32 v11, vcc, 0, v4, vcc
	v_mul_lo_u32 v12, s25, v8
	v_mul_lo_u32 v13, s24, v11
	v_mad_u64_u32 v[3:4], s[0:1], s24, v8, 0
	v_add3_u32 v4, v4, v13, v12
	v_sub_u32_e32 v12, v10, v4
	v_mov_b32_e32 v13, s25
	v_sub_co_u32_e32 v3, vcc, v9, v3
	v_subb_co_u32_e64 v12, s[0:1], v12, v13, vcc
	v_subrev_co_u32_e64 v13, s[0:1], s24, v3
	v_subbrev_co_u32_e64 v12, s[0:1], 0, v12, s[0:1]
	v_cmp_le_u32_e64 s[0:1], s25, v12
	v_cndmask_b32_e64 v14, 0, -1, s[0:1]
	v_cmp_le_u32_e64 s[0:1], s24, v13
	v_cndmask_b32_e64 v13, 0, -1, s[0:1]
	v_cmp_eq_u32_e64 s[0:1], s25, v12
	v_cndmask_b32_e64 v12, v14, v13, s[0:1]
	v_add_co_u32_e64 v13, s[0:1], 2, v8
	v_addc_co_u32_e64 v14, s[0:1], 0, v11, s[0:1]
	v_add_co_u32_e64 v15, s[0:1], 1, v8
	v_addc_co_u32_e64 v16, s[0:1], 0, v11, s[0:1]
	v_subb_co_u32_e32 v4, vcc, v10, v4, vcc
	v_cmp_ne_u32_e64 s[0:1], 0, v12
	v_cmp_le_u32_e32 vcc, s25, v4
	v_cndmask_b32_e64 v12, v16, v14, s[0:1]
	v_cndmask_b32_e64 v14, 0, -1, vcc
	v_cmp_le_u32_e32 vcc, s24, v3
	v_cndmask_b32_e64 v3, 0, -1, vcc
	v_cmp_eq_u32_e32 vcc, s25, v4
	v_cndmask_b32_e32 v3, v14, v3, vcc
	v_cmp_ne_u32_e32 vcc, 0, v3
	v_cndmask_b32_e64 v3, v15, v13, s[0:1]
	v_cndmask_b32_e32 v4, v11, v12, vcc
	v_cndmask_b32_e32 v3, v8, v3, vcc
.LBB0_4:                                ;   in Loop: Header=BB0_2 Depth=1
	s_andn2_saveexec_b64 s[0:1], s[26:27]
	s_cbranch_execz .LBB0_6
; %bb.5:                                ;   in Loop: Header=BB0_2 Depth=1
	v_cvt_f32_u32_e32 v3, s24
	s_sub_i32 s26, 0, s24
	v_rcp_iflag_f32_e32 v3, v3
	v_mul_f32_e32 v3, 0x4f7ffffe, v3
	v_cvt_u32_f32_e32 v3, v3
	v_mul_lo_u32 v4, s26, v3
	v_mul_hi_u32 v4, v3, v4
	v_add_u32_e32 v3, v3, v4
	v_mul_hi_u32 v3, v9, v3
	v_mul_lo_u32 v4, v3, s24
	v_add_u32_e32 v8, 1, v3
	v_sub_u32_e32 v4, v9, v4
	v_subrev_u32_e32 v11, s24, v4
	v_cmp_le_u32_e32 vcc, s24, v4
	v_cndmask_b32_e32 v4, v4, v11, vcc
	v_cndmask_b32_e32 v3, v3, v8, vcc
	v_add_u32_e32 v8, 1, v3
	v_cmp_le_u32_e32 vcc, s24, v4
	v_cndmask_b32_e32 v3, v3, v8, vcc
	v_mov_b32_e32 v4, v7
.LBB0_6:                                ;   in Loop: Header=BB0_2 Depth=1
	s_or_b64 exec, exec, s[0:1]
	v_mul_lo_u32 v8, v4, s24
	v_mul_lo_u32 v13, v3, s25
	v_mad_u64_u32 v[11:12], s[0:1], v3, s24, 0
	s_load_dwordx2 s[0:1], s[6:7], 0x0
	s_load_dwordx2 s[24:25], s[2:3], 0x0
	v_add3_u32 v8, v12, v13, v8
	v_sub_co_u32_e32 v9, vcc, v9, v11
	v_subb_co_u32_e32 v8, vcc, v10, v8, vcc
	s_waitcnt lgkmcnt(0)
	v_mul_lo_u32 v10, s0, v8
	v_mul_lo_u32 v11, s1, v9
	v_mad_u64_u32 v[5:6], s[0:1], s0, v9, v[5:6]
	v_mul_lo_u32 v8, s24, v8
	v_mul_lo_u32 v12, s25, v9
	v_mad_u64_u32 v[1:2], s[0:1], s24, v9, v[1:2]
	s_add_u32 s22, s22, 1
	s_addc_u32 s23, s23, 0
	s_add_u32 s2, s2, 8
	v_add3_u32 v2, v12, v2, v8
	s_addc_u32 s3, s3, 0
	v_mov_b32_e32 v8, s10
	s_add_u32 s6, s6, 8
	v_mov_b32_e32 v9, s11
	s_addc_u32 s7, s7, 0
	v_cmp_ge_u64_e32 vcc, s[22:23], v[8:9]
	s_add_u32 s20, s20, 8
	v_add3_u32 v6, v11, v6, v10
	s_addc_u32 s21, s21, 0
	s_cbranch_vccnz .LBB0_9
; %bb.7:                                ;   in Loop: Header=BB0_2 Depth=1
	v_mov_b32_e32 v10, v4
	v_mov_b32_e32 v9, v3
	s_branch .LBB0_2
.LBB0_8:
	v_mov_b32_e32 v1, v5
	v_mov_b32_e32 v3, v9
	;; [unrolled: 1-line block ×4, first 2 shown]
.LBB0_9:
	s_load_dwordx2 s[0:1], s[4:5], 0x28
	s_lshl_b64 s[6:7], s[10:11], 3
	s_add_u32 s2, s18, s6
	s_addc_u32 s3, s19, s7
                                        ; implicit-def: $sgpr10
                                        ; implicit-def: $vgpr7
	s_waitcnt lgkmcnt(0)
	v_cmp_gt_u64_e32 vcc, s[0:1], v[3:4]
	v_cmp_le_u64_e64 s[0:1], s[0:1], v[3:4]
	s_and_saveexec_b64 s[4:5], s[0:1]
	s_xor_b64 s[0:1], exec, s[4:5]
; %bb.10:
	s_mov_b32 s4, 0x1a98ef7
	v_mul_hi_u32 v5, v0, s4
	s_mov_b32 s10, 0
	v_mul_u32_u24_e32 v5, 0x9a, v5
	v_sub_u32_e32 v7, v0, v5
                                        ; implicit-def: $vgpr0
                                        ; implicit-def: $vgpr5_vgpr6
; %bb.11:
	s_or_saveexec_b64 s[4:5], s[0:1]
	v_mov_b32_e32 v8, s10
                                        ; implicit-def: $vgpr24
                                        ; implicit-def: $vgpr15
                                        ; implicit-def: $vgpr22
                                        ; implicit-def: $vgpr14
                                        ; implicit-def: $vgpr21
                                        ; implicit-def: $vgpr13
                                        ; implicit-def: $vgpr19
                                        ; implicit-def: $vgpr11
                                        ; implicit-def: $vgpr17
                                        ; implicit-def: $vgpr9
                                        ; implicit-def: $vgpr20
                                        ; implicit-def: $vgpr12
                                        ; implicit-def: $vgpr25
                                        ; implicit-def: $vgpr16
                                        ; implicit-def: $vgpr27
                                        ; implicit-def: $vgpr18
                                        ; implicit-def: $vgpr34
                                        ; implicit-def: $vgpr26
                                        ; implicit-def: $vgpr35
                                        ; implicit-def: $vgpr31
	s_xor_b64 exec, exec, s[4:5]
	s_cbranch_execz .LBB0_13
; %bb.12:
	s_add_u32 s0, s16, s6
	s_addc_u32 s1, s17, s7
	s_load_dwordx2 s[0:1], s[0:1], 0x0
	s_mov_b32 s6, 0x1a98ef7
	v_mul_hi_u32 v7, v0, s6
	v_lshlrev_b64 v[5:6], 2, v[5:6]
	s_waitcnt lgkmcnt(0)
	v_mul_lo_u32 v10, s1, v3
	v_mul_lo_u32 v11, s0, v4
	v_mad_u64_u32 v[8:9], s[0:1], s0, v3, 0
	v_mul_u32_u24_e32 v7, 0x9a, v7
	v_sub_u32_e32 v7, v0, v7
	v_add3_u32 v9, v9, v11, v10
	v_lshlrev_b64 v[8:9], 2, v[8:9]
	v_mov_b32_e32 v0, s13
	v_add_co_u32_e64 v8, s[0:1], s12, v8
	v_addc_co_u32_e64 v0, s[0:1], v0, v9, s[0:1]
	v_add_co_u32_e64 v5, s[0:1], v8, v5
	v_addc_co_u32_e64 v0, s[0:1], v0, v6, s[0:1]
	v_lshlrev_b32_e32 v6, 2, v7
	v_add_co_u32_e64 v5, s[0:1], v5, v6
	v_addc_co_u32_e64 v6, s[0:1], 0, v0, s[0:1]
	s_movk_i32 s0, 0x1000
	v_add_co_u32_e64 v19, s[0:1], s0, v5
	v_addc_co_u32_e64 v20, s[0:1], 0, v6, s[0:1]
	global_load_dword v15, v[5:6], off offset:616
	global_load_dword v14, v[5:6], off offset:1232
	global_load_dword v13, v[5:6], off offset:1848
	global_load_dword v11, v[5:6], off offset:2464
	global_load_dword v9, v[5:6], off offset:3080
	global_load_dword v12, v[5:6], off offset:3696
	global_load_dword v16, v[19:20], off offset:216
	global_load_dword v18, v[19:20], off offset:832
	global_load_dword v26, v[19:20], off offset:1448
	global_load_dword v31, v[19:20], off offset:2064
	global_load_dword v8, v[5:6], off
	s_waitcnt vmcnt(10)
	v_lshrrev_b32_e32 v24, 16, v15
	s_waitcnt vmcnt(9)
	v_lshrrev_b32_e32 v22, 16, v14
	;; [unrolled: 2-line block ×10, first 2 shown]
.LBB0_13:
	s_or_b64 exec, exec, s[4:5]
	v_add_f16_e32 v0, v15, v31
	v_sub_f16_e32 v6, v24, v35
	v_mul_f16_e32 v5, 0xbbad, v0
	s_mov_b32 s0, 0xb482
	v_add_f16_e32 v23, v14, v26
	v_fma_f16 v10, v6, s0, v5
	v_sub_f16_e32 v28, v22, v34
	s_movk_i32 s0, 0x3853
	v_mul_f16_e32 v29, 0x3abb, v23
	s_waitcnt vmcnt(0)
	v_add_f16_e32 v10, v10, v8
	v_fma_f16 v30, v28, s0, v29
	v_add_f16_e32 v10, v30, v10
	v_add_f16_e32 v30, v13, v18
	s_mov_b32 s1, 0xba0c
	v_sub_f16_e32 v32, v21, v27
	v_mul_f16_e32 v33, 0xb93d, v30
	v_fma_f16 v36, v32, s1, v33
	v_add_f16_e32 v40, v11, v16
	v_add_f16_e32 v10, v36, v10
	s_movk_i32 s1, 0x3b47
	v_sub_f16_e32 v41, v19, v25
	v_mul_f16_e32 v36, 0x36a6, v40
	v_fma_f16 v37, v41, s1, v36
	v_add_f16_e32 v42, v9, v12
	v_add_f16_e32 v10, v37, v10
	s_mov_b32 s4, 0xbbeb
	v_sub_f16_e32 v43, v17, v20
	v_mul_f16_e32 v37, 0xb08e, v42
	s_mov_b32 s7, 0x36a63abb
	v_fma_f16 v38, v43, s4, v37
	s_mov_b32 s11, 0xbb47b853
	v_pk_mul_f16 v44, v0, s7 op_sel_hi:[0,1]
	s_mov_b32 s10, 0xb93d36a6
	v_add_f16_e32 v10, v38, v10
	v_pk_fma_f16 v38, v6, s11, v44 op_sel_hi:[0,1,1]
	s_mov_b32 s13, 0xba0cbb47
	v_pk_mul_f16 v45, v23, s10 op_sel_hi:[0,1]
	s_mov_b32 s12, 0xbbadb08e
	v_pk_add_f16 v38, v38, v8 op_sel_hi:[1,0]
	v_pk_fma_f16 v39, v28, s13, v45 op_sel_hi:[0,1,1]
	s_mov_b32 s17, 0x3482bbeb
	v_pk_mul_f16 v46, v30, s12 op_sel_hi:[0,1]
	s_mov_b32 s16, 0xb08eb93d
	v_pk_add_f16 v38, v39, v38
	v_pk_fma_f16 v39, v32, s17, v46 op_sel_hi:[0,1,1]
	s_mov_b32 s18, 0x3bebba0c
	v_pk_mul_f16 v47, v40, s16 op_sel_hi:[0,1]
	s_mov_b32 s19, 0x3abbbbad
	v_pk_add_f16 v38, v39, v38
	v_pk_fma_f16 v39, v41, s18, v47 op_sel_hi:[0,1,1]
	s_mov_b32 s20, 0x3853b482
	v_pk_mul_f16 v48, v42, s19 op_sel_hi:[0,1]
	v_pk_add_f16 v38, v39, v38
	v_pk_fma_f16 v39, v43, s20, v48 op_sel_hi:[0,1,1]
	s_mov_b32 s21, 0xb93db08e
	v_pk_add_f16 v49, v39, v38
	s_mov_b32 s22, 0xba0cbbeb
	v_pk_mul_f16 v38, v0, s21 op_sel_hi:[0,1]
	s_mov_b32 s23, 0xb08ebbad
	v_pk_fma_f16 v39, v6, s22, v38 op_sel_hi:[0,1,1]
	s_mov_b32 s24, 0x3beb3482
	v_pk_mul_f16 v50, v23, s23 op_sel_hi:[0,1]
	v_pk_add_f16 v39, v39, v8 op_sel_hi:[1,0]
	v_pk_fma_f16 v51, v28, s24, v50 op_sel_hi:[0,1,1]
	s_mov_b32 s25, 0x3abb36a6
	v_pk_add_f16 v39, v51, v39
	s_mov_b32 s26, 0xb8533b47
	v_pk_mul_f16 v51, v30, s25 op_sel_hi:[0,1]
	v_pk_fma_f16 v52, v32, s26, v51 op_sel_hi:[0,1,1]
	s_mov_b32 s27, 0xbbad3abb
	v_pk_add_f16 v39, v52, v39
	s_mov_b32 s28, 0xb482b853
	v_pk_mul_f16 v52, v40, s27 op_sel_hi:[0,1]
	v_pk_fma_f16 v53, v41, s28, v52 op_sel_hi:[0,1,1]
	s_mov_b32 s29, 0x36a6b93d
	v_pk_add_f16 v39, v53, v39
	s_mov_b32 s30, 0x3b47ba0c
	v_pk_mul_f16 v53, v42, s29 op_sel_hi:[0,1]
	v_pk_fma_f16 v54, v43, s30, v53 op_sel_hi:[0,1,1]
	s_mov_b32 s6, 0xffff
	v_pk_add_f16 v54, v54, v39
	v_bfi_b32 v5, s6, v5, v38
	v_mul_f16_e32 v38, 0xb482, v6
	v_pk_mul_f16 v39, v6, s22 op_sel_hi:[0,1]
	v_bfi_b32 v38, s6, v38, v39
	v_pk_add_f16 v5, v5, v38 neg_lo:[0,1] neg_hi:[0,1]
	v_mul_f16_e32 v38, 0x3853, v28
	v_pk_mul_f16 v39, v28, s24 op_sel_hi:[0,1]
	v_bfi_b32 v29, s6, v29, v50
	v_bfi_b32 v38, s6, v38, v39
	v_pk_add_f16 v29, v29, v38 neg_lo:[0,1] neg_hi:[0,1]
	v_pk_add_f16 v5, v5, v8 op_sel_hi:[1,0]
	v_pk_add_f16 v5, v29, v5
	v_bfi_b32 v29, s6, v33, v51
	v_mul_f16_e32 v33, 0xba0c, v32
	v_pk_mul_f16 v38, v32, s26 op_sel_hi:[0,1]
	v_bfi_b32 v33, s6, v33, v38
	v_pk_add_f16 v29, v29, v33 neg_lo:[0,1] neg_hi:[0,1]
	v_pk_add_f16 v5, v29, v5
	v_bfi_b32 v29, s6, v36, v52
	v_mul_f16_e32 v33, 0x3b47, v41
	v_pk_mul_f16 v36, v41, s28 op_sel_hi:[0,1]
	v_bfi_b32 v33, s6, v33, v36
	v_pk_add_f16 v29, v29, v33 neg_lo:[0,1] neg_hi:[0,1]
	v_mul_f16_e32 v33, 0xbbeb, v43
	v_pk_mul_f16 v36, v43, s30 op_sel_hi:[0,1]
	v_pk_add_f16 v5, v29, v5
	v_bfi_b32 v29, s6, v37, v53
	v_bfi_b32 v33, s6, v33, v36
	v_pk_add_f16 v29, v29, v33 neg_lo:[0,1] neg_hi:[0,1]
	v_alignbit_b32 v38, v10, v54, 16
	v_fma_f16 v10, v6, s0, v44
	v_pk_add_f16 v39, v29, v5
	v_add_f16_e32 v10, v10, v8
	v_fma_f16 v29, v28, s1, v45
	s_movk_i32 s0, 0x3beb
	v_add_f16_e32 v10, v29, v10
	v_fma_f16 v29, v32, s0, v46
	s_movk_i32 s0, 0x3a0c
	;; [unrolled: 3-line block ×3, first 2 shown]
	v_add_f16_e32 v5, v15, v8
	v_add_f16_e32 v10, v29, v10
	v_fma_f16 v29, v43, s0, v48
	s_mov_b32 s0, 0x3b473beb
	v_add_f16_e32 v5, v14, v5
	s_mov_b32 s31, 0x36a6b08e
	v_pk_mul_f16 v6, v6, s0 op_sel_hi:[0,1]
	s_mov_b32 s0, 0x3a0cb482
	v_add_f16_e32 v5, v13, v5
	v_pk_fma_f16 v0, v0, s31, v6 op_sel_hi:[0,1,1]
	s_mov_b32 s33, 0xb93dbbad
	v_pk_mul_f16 v6, v28, s0 op_sel_hi:[0,1]
	v_add_f16_e32 v5, v11, v5
	v_pk_fma_f16 v6, v23, s33, v6 op_sel_hi:[0,1,1]
	v_pk_add_f16 v0, v0, v8 op_sel_hi:[1,0]
	s_mov_b32 s0, 0xb482bb47
	v_add_f16_e32 v5, v9, v5
	v_pk_add_f16 v0, v6, v0
	s_mov_b32 s34, 0xbbad36a6
	v_pk_mul_f16 v6, v32, s0 op_sel_hi:[0,1]
	v_add_f16_e32 v5, v12, v5
	v_pk_fma_f16 v6, v30, s34, v6 op_sel_hi:[0,1,1]
	s_mov_b32 s0, 0xbbeb3853
	v_add_f16_e32 v5, v16, v5
	v_pk_add_f16 v0, v6, v0
	s_mov_b32 s35, 0xb08e3abb
	v_pk_mul_f16 v6, v41, s0 op_sel_hi:[0,1]
	v_add_f16_e32 v5, v18, v5
	v_pk_fma_f16 v6, v40, s35, v6 op_sel_hi:[0,1,1]
	;; [unrolled: 7-line block ×3, first 2 shown]
	v_alignbit_b32 v37, v54, v49, 16
	v_pack_b32_f16 v36, v5, v49
	v_mad_u32_u24 v5, v7, 22, 0
	v_pk_add_f16 v0, v6, v0
	s_movk_i32 s0, 0xffec
	ds_write_b128 v5, v[36:39]
	v_add_f16_e32 v10, v29, v10
	s_load_dwordx2 s[2:3], s[2:3], 0x0
	ds_write_b32 v5, v0 offset:16
	ds_write_b16 v5, v10 offset:20
	v_mad_i32_i24 v0, v7, s0, v5
	s_waitcnt lgkmcnt(0)
	s_barrier
	ds_read_u16 v23, v0 offset:2310
	ds_read_u16 v36, v0
	ds_read_u16 v37, v0 offset:308
	ds_read_u16 v38, v0 offset:616
	;; [unrolled: 1-line block ×8, first 2 shown]
	s_movk_i32 s0, 0x4d
	s_mov_b32 s40, 0xbbad
	s_movk_i32 s39, 0x3abb
	s_mov_b32 s38, 0xb93d
	;; [unrolled: 2-line block ×3, first 2 shown]
	v_cmp_gt_u32_e64 s[0:1], s0, v7
                                        ; implicit-def: $vgpr33
	s_and_saveexec_b64 s[4:5], s[0:1]
	s_cbranch_execz .LBB0_15
; %bb.14:
	ds_read_u16 v10, v0 offset:1540
	ds_read_u16 v33, v0 offset:3234
.LBB0_15:
	s_or_b64 exec, exec, s[4:5]
	v_add_f16_sdwa v6, v24, v8 dst_sel:DWORD dst_unused:UNUSED_PAD src0_sel:DWORD src1_sel:WORD_1
	v_add_f16_e32 v6, v22, v6
	v_add_f16_e32 v6, v21, v6
	;; [unrolled: 1-line block ×8, first 2 shown]
	v_sub_f16_e32 v15, v15, v31
	v_add_f16_e32 v6, v35, v6
	v_add_f16_e32 v24, v24, v35
	v_mul_f16_e32 v35, 0xb482, v15
	v_sub_f16_e32 v14, v14, v26
	v_fma_f16 v41, v24, s40, -v35
	v_add_f16_e32 v22, v22, v34
	v_mul_f16_e32 v34, 0x3853, v14
	v_sub_f16_e32 v13, v13, v18
	v_add_f16_sdwa v41, v41, v8 dst_sel:DWORD dst_unused:UNUSED_PAD src0_sel:DWORD src1_sel:WORD_1
	v_fma_f16 v42, v22, s39, -v34
	v_add_f16_e32 v21, v21, v27
	v_mul_f16_e32 v27, 0xba0c, v13
	v_sub_f16_e32 v11, v11, v16
	v_add_f16_e32 v41, v42, v41
	v_fma_f16 v42, v21, s38, -v27
	v_add_f16_e32 v19, v19, v25
	v_mul_f16_e32 v25, 0x3b47, v11
	v_add_f16_e32 v41, v42, v41
	v_fma_f16 v42, v19, s41, -v25
	v_sub_f16_e32 v12, v9, v12
	v_pk_mul_f16 v9, v15, s11 op_sel_hi:[0,1]
	v_add_f16_e32 v41, v42, v41
	v_add_f16_e32 v17, v17, v20
	v_fma_f16 v20, v24, s39, v9
	v_pk_fma_f16 v9, v24, s7, v9 op_sel_hi:[0,1,1] neg_lo:[0,0,1] neg_hi:[0,0,1]
	v_pk_mul_f16 v42, v14, s13 op_sel_hi:[0,1]
	v_pk_add_f16 v9, v9, v8 op_sel:[0,1]
	v_fma_f16 v43, v22, s41, v42
	v_pk_fma_f16 v42, v22, s10, v42 op_sel_hi:[0,1,1] neg_lo:[0,0,1] neg_hi:[0,0,1]
	v_add_f16_sdwa v20, v20, v8 dst_sel:DWORD dst_unused:UNUSED_PAD src0_sel:DWORD src1_sel:WORD_1
	v_pk_add_f16 v9, v42, v9
	v_pk_mul_f16 v42, v13, s17 op_sel_hi:[0,1]
	v_add_f16_e32 v20, v43, v20
	v_fma_f16 v43, v21, s37, v42
	v_pk_fma_f16 v42, v21, s12, v42 op_sel_hi:[0,1,1] neg_lo:[0,0,1] neg_hi:[0,0,1]
	v_pk_add_f16 v9, v42, v9
	v_pk_mul_f16 v42, v11, s18 op_sel_hi:[0,1]
	v_add_f16_e32 v20, v43, v20
	v_fma_f16 v43, v19, s38, v42
	v_pk_fma_f16 v42, v19, s16, v42 op_sel_hi:[0,1,1] neg_lo:[0,0,1] neg_hi:[0,0,1]
	v_add_f16_e32 v20, v43, v20
	v_pk_add_f16 v42, v42, v9
	v_pk_mul_f16 v9, v17, s19 op_sel_hi:[0,1]
	v_pk_mul_f16 v43, v12, s20 op_sel_hi:[0,1]
	s_mov_b32 s4, 0xbb47bbeb
	v_pk_fma_f16 v44, v17, s19, v43 op_sel_hi:[0,1,1] neg_lo:[0,0,1] neg_hi:[0,0,1]
	v_add_f16_e32 v9, v9, v43
	v_pk_mul_f16 v43, v15, s22 op_sel_hi:[0,1]
	v_pk_mul_f16 v15, v15, s4 op_sel_hi:[0,1]
	s_mov_b32 s4, 0xba0c3482
	v_pk_mul_f16 v46, v14, s24 op_sel_hi:[0,1]
	v_pk_fma_f16 v15, v24, s31, v15 op_sel_hi:[0,1,1]
	v_pk_mul_f16 v14, v14, s4 op_sel_hi:[0,1]
	s_mov_b32 s4, 0x34823b47
	v_pk_mul_f16 v48, v13, s26 op_sel_hi:[0,1]
	v_pk_add_f16 v15, v15, v8 op_sel:[0,1]
	v_pk_fma_f16 v14, v22, s33, v14 op_sel_hi:[0,1,1]
	v_pk_mul_f16 v13, v13, s4 op_sel_hi:[0,1]
	s_mov_b32 s4, 0x3bebb853
	v_add_f16_e32 v9, v9, v20
	v_pk_add_f16 v20, v44, v42
	v_pk_fma_f16 v44, v24, s21, v43 op_sel_hi:[0,1,1] neg_lo:[0,0,1] neg_hi:[0,0,1]
	v_pk_mul_f16 v50, v11, s28 op_sel_hi:[0,1]
	v_pk_add_f16 v14, v14, v15
	v_pk_fma_f16 v13, v21, s34, v13 op_sel_hi:[0,1,1]
	v_pk_mul_f16 v11, v11, s4 op_sel_hi:[0,1]
	v_pk_add_f16 v44, v44, v8 op_sel:[0,1]
	v_pk_fma_f16 v47, v22, s23, v46 op_sel_hi:[0,1,1] neg_lo:[0,0,1] neg_hi:[0,0,1]
	v_pk_add_f16 v13, v13, v14
	v_pk_fma_f16 v11, v19, s35, v11 op_sel_hi:[0,1,1]
	s_mov_b32 s4, 0x3853ba0c
	v_pk_add_f16 v44, v47, v44
	v_pk_fma_f16 v49, v21, s25, v48 op_sel_hi:[0,1,1] neg_lo:[0,0,1] neg_hi:[0,0,1]
	v_pk_mul_f16 v52, v12, s30 op_sel_hi:[0,1]
	v_pk_add_f16 v11, v11, v13
	v_pk_mul_f16 v13, v12, s4 op_sel_hi:[0,1]
	v_mul_f16_e32 v12, 0xbbeb, v12
	v_mul_f16_e32 v31, 0xbbad, v24
	v_pk_mul_f16 v42, v24, s21 op_sel_hi:[0,1]
	v_pk_add_f16 v44, v49, v44
	v_pk_fma_f16 v51, v19, s27, v50 op_sel_hi:[0,1,1] neg_lo:[0,0,1] neg_hi:[0,0,1]
	v_pk_fma_f16 v13, v17, s36, v13 op_sel_hi:[0,1,1]
	v_fma_f16 v14, v17, s37, -v12
	v_mul_f16_e32 v16, 0x36a6, v19
	v_pk_mul_f16 v49, v19, s27 op_sel_hi:[0,1]
	v_pk_add_f16 v44, v51, v44
	v_pk_mul_f16 v51, v17, s29 op_sel_hi:[0,1]
	v_pk_fma_f16 v53, v17, s29, v52 op_sel_hi:[0,1,1] neg_lo:[0,0,1] neg_hi:[0,0,1]
	v_pk_add_f16 v15, v13, v11
	v_mul_f16_e32 v13, 0xb08e, v17
	v_add_f16_e32 v17, v14, v41
	v_bfi_b32 v14, s6, v31, v42
	v_bfi_b32 v19, s6, v35, v43
	v_mul_f16_e32 v26, 0x3abb, v22
	v_pk_mul_f16 v45, v22, s23 op_sel_hi:[0,1]
	v_pk_add_f16 v14, v14, v19
	v_pk_add_f16 v8, v14, v8 op_sel:[0,1]
	v_bfi_b32 v14, s6, v26, v45
	v_bfi_b32 v19, s6, v34, v46
	v_mul_f16_e32 v18, 0xb93d, v21
	v_pk_mul_f16 v47, v21, s25 op_sel_hi:[0,1]
	v_pk_add_f16 v14, v14, v19
	v_pk_add_f16 v8, v14, v8
	v_bfi_b32 v14, s6, v18, v47
	v_bfi_b32 v18, s6, v27, v48
	v_pk_add_f16 v14, v14, v18
	v_pk_add_f16 v8, v14, v8
	v_bfi_b32 v14, s6, v16, v49
	v_bfi_b32 v16, s6, v25, v50
	v_pk_add_f16 v14, v14, v16
	v_bfi_b32 v13, s6, v13, v51
	v_bfi_b32 v12, s6, v12, v52
	v_pk_add_f16 v11, v53, v44
	v_pk_add_f16 v8, v14, v8
	;; [unrolled: 1-line block ×4, first 2 shown]
	v_alignbit_b32 v13, v17, v11, 16
	v_alignbit_b32 v12, v11, v20, 16
	v_pack_b32_f16 v11, v6, v20
	s_waitcnt lgkmcnt(0)
	s_barrier
	ds_write_b128 v5, v[11:14]
	ds_write_b32 v5, v15 offset:16
	ds_write_b16 v5, v9 offset:20
	s_waitcnt lgkmcnt(0)
	s_barrier
	ds_read_u16 v15, v0 offset:2002
	ds_read_u16 v16, v0 offset:2310
	ds_read_u16 v14, v0
	ds_read_u16 v13, v0 offset:308
	ds_read_u16 v11, v0 offset:616
	;; [unrolled: 1-line block ×7, first 2 shown]
                                        ; implicit-def: $vgpr19
	s_and_saveexec_b64 s[4:5], s[0:1]
	s_cbranch_execz .LBB0_17
; %bb.16:
	ds_read_u16 v9, v0 offset:1540
	ds_read_u16 v19, v0 offset:3234
.LBB0_17:
	s_or_b64 exec, exec, s[4:5]
	s_movk_i32 s4, 0x75
	v_mul_lo_u16_sdwa v25, v7, s4 dst_sel:DWORD dst_unused:UNUSED_PAD src0_sel:BYTE_0 src1_sel:DWORD
	v_sub_u16_sdwa v26, v7, v25 dst_sel:DWORD dst_unused:UNUSED_PAD src0_sel:DWORD src1_sel:BYTE_1
	v_lshrrev_b16_e32 v26, 1, v26
	v_and_b32_e32 v26, 0x7f, v26
	v_add_u16_sdwa v25, v26, v25 dst_sel:DWORD dst_unused:UNUSED_PAD src0_sel:DWORD src1_sel:BYTE_1
	v_lshrrev_b16_e32 v41, 3, v25
	v_mul_lo_u16_e32 v25, 11, v41
	v_add_u32_e32 v5, 0x9a, v7
	v_sub_u16_e32 v42, v7, v25
	v_mov_b32_e32 v25, 2
	s_mov_b32 s4, 0xba2f
	v_lshlrev_b32_sdwa v26, v25, v42 dst_sel:DWORD dst_unused:UNUSED_PAD src0_sel:DWORD src1_sel:BYTE_0
	v_mul_u32_u24_sdwa v25, v5, s4 dst_sel:DWORD dst_unused:UNUSED_PAD src0_sel:WORD_0 src1_sel:DWORD
	v_lshrrev_b32_e32 v31, 19, v25
	v_add_u32_e32 v6, 0x134, v7
	v_mul_lo_u16_e32 v25, 11, v31
	v_sub_u16_e32 v43, v5, v25
	v_mul_u32_u24_sdwa v25, v6, s4 dst_sel:DWORD dst_unused:UNUSED_PAD src0_sel:WORD_0 src1_sel:DWORD
	v_lshrrev_b32_e32 v45, 19, v25
	v_add_u32_e32 v21, 0x1ce, v7
	v_mul_lo_u16_e32 v25, 11, v45
	v_sub_u16_e32 v6, v6, v25
	;; [unrolled: 5-line block ×4, first 2 shown]
	v_mul_u32_u24_sdwa v21, v24, s4 dst_sel:DWORD dst_unused:UNUSED_PAD src0_sel:WORD_0 src1_sel:DWORD
	v_lshrrev_b32_e32 v53, 19, v21
	v_mul_lo_u16_e32 v21, 11, v53
	v_sub_u16_e32 v54, v24, v21
	v_lshlrev_b32_e32 v44, 2, v43
	v_lshlrev_b32_e32 v46, 2, v6
	v_lshlrev_b32_e32 v49, 2, v48
	v_lshlrev_b32_e32 v52, 2, v51
	v_lshlrev_b32_e32 v24, 2, v54
	global_load_dword v35, v26, s[8:9]
	global_load_dword v34, v44, s[8:9]
	;; [unrolled: 1-line block ×6, first 2 shown]
	v_mov_b32_e32 v44, 1
	v_mul_u32_u24_e32 v26, 44, v45
	v_lshlrev_b32_e32 v6, 1, v6
	v_add3_u32 v26, 0, v26, v6
	v_mul_u32_u24_e32 v6, 44, v41
	v_lshlrev_b32_sdwa v41, v44, v42 dst_sel:DWORD dst_unused:UNUSED_PAD src0_sel:DWORD src1_sel:BYTE_0
	v_mul_u32_u24_e32 v24, 44, v31
	v_mul_u32_u24_e32 v45, 44, v47
	v_lshlrev_b32_e32 v31, 1, v43
	v_lshlrev_b32_e32 v43, 1, v48
	v_add3_u32 v41, 0, v6, v41
	v_add3_u32 v31, 0, v24, v31
	;; [unrolled: 1-line block ×3, first 2 shown]
	s_waitcnt vmcnt(0) lgkmcnt(0)
	s_barrier
	v_mul_f16_sdwa v6, v20, v35 dst_sel:DWORD dst_unused:UNUSED_PAD src0_sel:DWORD src1_sel:WORD_1
	v_mul_f16_sdwa v42, v15, v34 dst_sel:DWORD dst_unused:UNUSED_PAD src0_sel:DWORD src1_sel:WORD_1
	;; [unrolled: 1-line block ×4, first 2 shown]
	v_fma_f16 v6, v32, v35, v6
	v_fma_f16 v42, v30, v34, v42
	v_mul_f16_sdwa v45, v17, v22 dst_sel:DWORD dst_unused:UNUSED_PAD src0_sel:DWORD src1_sel:WORD_1
	v_fma_f16 v43, v23, v27, v43
	v_fma_f16 v44, v29, v25, v44
	v_sub_f16_e32 v47, v36, v6
	v_sub_f16_e32 v42, v37, v42
	v_mul_f16_sdwa v46, v19, v21 dst_sel:DWORD dst_unused:UNUSED_PAD src0_sel:DWORD src1_sel:WORD_1
	v_fma_f16 v45, v28, v22, v45
	v_sub_f16_e32 v43, v38, v43
	v_sub_f16_e32 v44, v39, v44
	v_fma_f16 v36, v36, 2.0, -v47
	v_fma_f16 v37, v37, 2.0, -v42
	v_fma_f16 v46, v33, v21, v46
	v_sub_f16_e32 v45, v40, v45
	v_fma_f16 v38, v38, 2.0, -v43
	v_fma_f16 v39, v39, 2.0, -v44
	ds_write_b16 v41, v47 offset:22
	ds_write_b16 v41, v36
	ds_write_b16 v31, v37
	ds_write_b16 v31, v42 offset:22
	ds_write_b16 v26, v38
	ds_write_b16 v26, v43 offset:22
	;; [unrolled: 2-line block ×3, first 2 shown]
	v_mul_u32_u24_e32 v36, 44, v50
	v_lshlrev_b32_e32 v37, 1, v51
	v_sub_f16_e32 v6, v10, v46
	v_fma_f16 v40, v40, 2.0, -v45
	v_add3_u32 v38, 0, v36, v37
	v_mul_lo_u16_e32 v36, 22, v53
	v_lshlrev_b32_e32 v37, 1, v54
	ds_write_b16 v38, v40
	ds_write_b16 v38, v45 offset:22
	s_and_saveexec_b64 s[4:5], s[0:1]
	s_cbranch_execz .LBB0_19
; %bb.18:
	v_lshlrev_b32_e32 v39, 1, v36
	v_fma_f16 v10, v10, 2.0, -v6
	v_add3_u32 v39, 0, v37, v39
	ds_write_b16 v39, v10
	ds_write_b16 v39, v6 offset:22
.LBB0_19:
	s_or_b64 exec, exec, s[4:5]
	v_mul_f16_sdwa v10, v32, v35 dst_sel:DWORD dst_unused:UNUSED_PAD src0_sel:DWORD src1_sel:WORD_1
	v_fma_f16 v10, v20, v35, -v10
	v_mul_f16_sdwa v20, v30, v34 dst_sel:DWORD dst_unused:UNUSED_PAD src0_sel:DWORD src1_sel:WORD_1
	v_fma_f16 v15, v15, v34, -v20
	;; [unrolled: 2-line block ×6, first 2 shown]
	v_sub_f16_e32 v23, v14, v10
	v_sub_f16_e32 v28, v11, v16
	;; [unrolled: 1-line block ×4, first 2 shown]
	v_fma_f16 v25, v14, 2.0, -v23
	v_sub_f16_e32 v27, v13, v15
	v_fma_f16 v29, v11, 2.0, -v28
	v_fma_f16 v32, v8, 2.0, -v30
	;; [unrolled: 1-line block ×3, first 2 shown]
	v_sub_f16_e32 v8, v9, v19
	s_waitcnt lgkmcnt(0)
	s_barrier
	v_lshl_add_u32 v22, v7, 1, 0
	ds_read_u16 v11, v0
	ds_read_u16 v19, v0 offset:308
	ds_read_u16 v18, v0 offset:616
	;; [unrolled: 1-line block ×10, first 2 shown]
	v_fma_f16 v13, v13, 2.0, -v27
	s_waitcnt lgkmcnt(0)
	s_barrier
	ds_write_b16 v41, v25
	ds_write_b16 v41, v23 offset:22
	ds_write_b16 v31, v13
	ds_write_b16 v31, v27 offset:22
	;; [unrolled: 2-line block ×5, first 2 shown]
	s_and_saveexec_b64 s[4:5], s[0:1]
	s_cbranch_execz .LBB0_21
; %bb.20:
	v_lshlrev_b32_e32 v13, 1, v36
	v_fma_f16 v9, v9, 2.0, -v8
	v_add3_u32 v13, 0, v37, v13
	ds_write_b16 v13, v9
	ds_write_b16 v13, v8 offset:22
.LBB0_21:
	s_or_b64 exec, exec, s[4:5]
	v_lshrrev_b16_e32 v9, 1, v7
	v_and_b32_e32 v9, 0x7f, v9
	v_mul_lo_u16_e32 v9, 0xbb, v9
	v_lshrrev_b16_e32 v43, 11, v9
	v_mul_lo_u16_e32 v9, 22, v43
	v_sub_u16_e32 v44, v7, v9
	v_mov_b32_e32 v9, 10
	v_mul_u32_u24_sdwa v9, v44, v9 dst_sel:DWORD dst_unused:UNUSED_PAD src0_sel:BYTE_0 src1_sel:DWORD
	v_lshlrev_b32_e32 v9, 2, v9
	s_waitcnt lgkmcnt(0)
	s_barrier
	global_load_dwordx4 v[23:26], v9, s[8:9] offset:44
	global_load_dwordx4 v[37:40], v9, s[8:9] offset:60
	global_load_dwordx2 v[41:42], v9, s[8:9] offset:76
	ds_read_u16 v13, v0
	ds_read_u16 v9, v0 offset:308
	ds_read_u16 v27, v0 offset:616
	;; [unrolled: 1-line block ×10, first 2 shown]
	s_mov_b32 s0, 0xbbad
	s_movk_i32 s1, 0x3abb
	s_mov_b32 s4, 0xb93d
	s_mov_b32 s11, 0x3abb36a6
	;; [unrolled: 1-line block ×8, first 2 shown]
	s_waitcnt vmcnt(0) lgkmcnt(0)
	s_barrier
	s_mov_b32 s6, 0xb482
	s_movk_i32 s7, 0x3853
	s_mov_b32 s10, 0xba0c
	s_movk_i32 s21, 0x3b47
	s_mov_b32 s20, 0xbbeb
	v_mul_f16_sdwa v29, v9, v23 dst_sel:DWORD dst_unused:UNUSED_PAD src0_sel:DWORD src1_sel:WORD_1
	v_mul_f16_sdwa v31, v19, v23 dst_sel:DWORD dst_unused:UNUSED_PAD src0_sel:DWORD src1_sel:WORD_1
	;; [unrolled: 1-line block ×3, first 2 shown]
	v_fma_f16 v34, v19, v23, v29
	v_mul_f16_sdwa v48, v18, v24 dst_sel:DWORD dst_unused:UNUSED_PAD src0_sel:DWORD src1_sel:WORD_1
	v_mul_f16_sdwa v49, v28, v25 dst_sel:DWORD dst_unused:UNUSED_PAD src0_sel:DWORD src1_sel:WORD_1
	v_fma_f16 v36, v9, v23, -v31
	v_fma_f16 v31, v18, v24, v32
	v_add_f16_e32 v9, v11, v34
	v_mul_f16_sdwa v51, v30, v26 dst_sel:DWORD dst_unused:UNUSED_PAD src0_sel:DWORD src1_sel:WORD_1
	v_fma_f16 v32, v27, v24, -v48
	v_fma_f16 v27, v16, v25, v49
	v_add_f16_e32 v9, v9, v31
	v_mul_f16_sdwa v52, v14, v26 dst_sel:DWORD dst_unused:UNUSED_PAD src0_sel:DWORD src1_sel:WORD_1
	v_mul_f16_sdwa v53, v22, v37 dst_sel:DWORD dst_unused:UNUSED_PAD src0_sel:DWORD src1_sel:WORD_1
	;; [unrolled: 1-line block ×7, first 2 shown]
	v_fma_f16 v19, v14, v26, v51
	v_add_f16_e32 v9, v9, v27
	v_mul_f16_sdwa v50, v16, v25 dst_sel:DWORD dst_unused:UNUSED_PAD src0_sel:DWORD src1_sel:WORD_1
	v_mul_f16_sdwa v55, v33, v38 dst_sel:DWORD dst_unused:UNUSED_PAD src0_sel:DWORD src1_sel:WORD_1
	v_mul_f16_sdwa v57, v35, v39 dst_sel:DWORD dst_unused:UNUSED_PAD src0_sel:DWORD src1_sel:WORD_1
	v_mul_f16_sdwa v62, v10, v41 dst_sel:DWORD dst_unused:UNUSED_PAD src0_sel:DWORD src1_sel:WORD_1
	v_mul_f16_sdwa v63, v47, v42 dst_sel:DWORD dst_unused:UNUSED_PAD src0_sel:DWORD src1_sel:WORD_1
	v_fma_f16 v26, v30, v26, -v52
	v_fma_f16 v14, v21, v37, v53
	v_fma_f16 v18, v33, v38, -v56
	v_fma_f16 v30, v35, v39, -v58
	v_fma_f16 v33, v15, v40, v59
	v_fma_f16 v35, v45, v40, -v60
	v_fma_f16 v40, v47, v42, -v64
	v_add_f16_e32 v9, v9, v19
	v_mul_f16_sdwa v54, v21, v37 dst_sel:DWORD dst_unused:UNUSED_PAD src0_sel:DWORD src1_sel:WORD_1
	v_mul_f16_sdwa v61, v46, v41 dst_sel:DWORD dst_unused:UNUSED_PAD src0_sel:DWORD src1_sel:WORD_1
	v_fma_f16 v29, v28, v25, -v50
	v_fma_f16 v17, v17, v38, v55
	v_fma_f16 v28, v20, v39, v57
	v_fma_f16 v38, v46, v41, -v62
	v_fma_f16 v39, v12, v42, v63
	v_sub_f16_e32 v15, v36, v40
	v_add_f16_e32 v9, v9, v14
	v_fma_f16 v16, v22, v37, -v54
	v_fma_f16 v37, v10, v41, v61
	v_add_f16_e32 v12, v34, v39
	v_sub_f16_e32 v21, v32, v38
	v_mul_f16_e32 v10, 0xb482, v15
	v_add_f16_e32 v9, v9, v17
	v_add_f16_e32 v20, v31, v37
	v_sub_f16_e32 v23, v29, v35
	v_mul_f16_e32 v24, 0x3853, v21
	v_fma_f16 v41, v12, s0, v10
	v_add_f16_e32 v9, v9, v28
	v_add_f16_e32 v22, v27, v33
	v_mul_f16_e32 v25, 0xba0c, v23
	v_fma_f16 v10, v12, s0, -v10
	v_fma_f16 v42, v20, s1, v24
	v_add_f16_e32 v41, v11, v41
	v_add_f16_e32 v9, v9, v33
	v_fma_f16 v24, v20, s1, -v24
	v_fma_f16 v45, v22, s4, v25
	v_add_f16_e32 v10, v11, v10
	v_add_f16_e32 v41, v42, v41
	;; [unrolled: 1-line block ×6, first 2 shown]
	v_fma_f16 v25, v22, s4, -v25
	v_sub_f16_e32 v41, v26, v30
	v_add_f16_e32 v10, v25, v10
	v_add_f16_e32 v25, v19, v28
	v_mul_f16_e32 v42, 0x3b47, v41
	s_movk_i32 s0, 0x36a6
	v_fma_f16 v45, v25, s0, v42
	v_add_f16_e32 v45, v45, v9
	v_fma_f16 v9, v25, s0, -v42
	s_mov_b32 s0, 0xb853bb47
	v_add_f16_e32 v42, v9, v10
	v_pk_mul_f16 v9, v15, s0 op_sel_hi:[0,1]
	v_pk_fma_f16 v10, v12, s11, v9 op_sel_hi:[0,1,1]
	v_pk_fma_f16 v9, v12, s11, v9 op_sel_hi:[0,1,1] neg_lo:[0,0,1] neg_hi:[0,0,1]
	v_pk_mul_f16 v49, v21, s13 op_sel_hi:[0,1]
	v_pk_add_f16 v9, v11, v9 op_sel_hi:[0,1]
	v_pk_fma_f16 v50, v20, s16, v49 op_sel_hi:[0,1,1]
	v_pk_fma_f16 v49, v20, s16, v49 op_sel_hi:[0,1,1] neg_lo:[0,0,1] neg_hi:[0,0,1]
	s_mov_b32 s0, 0xbbeb3482
	v_add_f16_sdwa v48, v11, v10 dst_sel:DWORD dst_unused:UNUSED_PAD src0_sel:DWORD src1_sel:WORD_1
	v_add_f16_e32 v10, v11, v10
	v_pk_add_f16 v9, v49, v9
	v_pk_mul_f16 v49, v23, s0 op_sel_hi:[0,1]
	v_add_f16_sdwa v48, v50, v48 dst_sel:DWORD dst_unused:UNUSED_PAD src0_sel:WORD_1 src1_sel:DWORD
	v_add_f16_e32 v10, v50, v10
	v_pk_fma_f16 v50, v22, s12, v49 op_sel_hi:[0,1,1]
	v_pk_fma_f16 v49, v22, s12, v49 op_sel_hi:[0,1,1] neg_lo:[0,0,1] neg_hi:[0,0,1]
	v_pk_add_f16 v9, v49, v9
	v_pk_mul_f16 v49, v41, s17 op_sel_hi:[0,1]
	v_sub_f16_e32 v47, v16, v18
	v_add_f16_sdwa v48, v50, v48 dst_sel:DWORD dst_unused:UNUSED_PAD src0_sel:WORD_1 src1_sel:DWORD
	v_add_f16_e32 v10, v50, v10
	v_pk_fma_f16 v50, v25, s18, v49 op_sel_hi:[0,1,1]
	v_pk_fma_f16 v49, v25, s18, v49 op_sel_hi:[0,1,1] neg_lo:[0,0,1] neg_hi:[0,0,1]
	s_mov_b32 s0, 0xb4823853
	v_add_f16_e32 v46, v14, v17
	v_pk_add_f16 v9, v49, v9
	v_pk_mul_f16 v49, v47, s0 op_sel_hi:[0,1]
	v_add_f16_sdwa v48, v50, v48 dst_sel:DWORD dst_unused:UNUSED_PAD src0_sel:WORD_1 src1_sel:DWORD
	v_add_f16_e32 v10, v50, v10
	v_pk_fma_f16 v50, v46, s19, v49 op_sel_hi:[0,1,1]
	v_add_f16_sdwa v48, v50, v48 dst_sel:DWORD dst_unused:UNUSED_PAD src0_sel:WORD_1 src1_sel:DWORD
	v_add_f16_e32 v50, v50, v10
	v_pk_fma_f16 v10, v46, s19, v49 op_sel_hi:[0,1,1] neg_lo:[0,0,1] neg_hi:[0,0,1]
	s_mov_b32 s1, 0xbbebba0c
	v_pk_add_f16 v10, v10, v9
	s_mov_b32 s0, 0xb08eb93d
	v_pk_mul_f16 v9, v15, s1 op_sel_hi:[0,1]
	v_pk_fma_f16 v15, v12, s0, v9 op_sel_hi:[0,1,1]
	v_pk_fma_f16 v9, v12, s0, v9 op_sel_hi:[0,1,1] neg_lo:[0,0,1] neg_hi:[0,0,1]
	s_mov_b32 s1, 0x34823beb
	v_add_f16_sdwa v49, v11, v15 dst_sel:DWORD dst_unused:UNUSED_PAD src0_sel:DWORD src1_sel:WORD_1
	v_add_f16_e32 v15, v11, v15
	v_pk_add_f16 v9, v11, v9 op_sel_hi:[0,1]
	s_mov_b32 s0, 0xbbadb08e
	v_pk_mul_f16 v11, v21, s1 op_sel_hi:[0,1]
	v_pk_fma_f16 v12, v20, s0, v11 op_sel_hi:[0,1,1]
	v_pk_fma_f16 v11, v20, s0, v11 op_sel_hi:[0,1,1] neg_lo:[0,0,1] neg_hi:[0,0,1]
	s_mov_b32 s1, 0x3b47b853
	v_pk_add_f16 v9, v11, v9
	s_mov_b32 s0, 0x36a63abb
	v_pk_mul_f16 v11, v23, s1 op_sel_hi:[0,1]
	v_add_f16_sdwa v21, v12, v49 dst_sel:DWORD dst_unused:UNUSED_PAD src0_sel:WORD_1 src1_sel:DWORD
	v_add_f16_e32 v12, v12, v15
	v_pk_fma_f16 v15, v22, s0, v11 op_sel_hi:[0,1,1]
	v_pk_fma_f16 v11, v22, s0, v11 op_sel_hi:[0,1,1] neg_lo:[0,0,1] neg_hi:[0,0,1]
	s_mov_b32 s1, 0xb853b482
	v_pk_add_f16 v9, v11, v9
	s_mov_b32 s0, 0x3abbbbad
	v_pk_mul_f16 v11, v41, s1 op_sel_hi:[0,1]
	v_add_f16_sdwa v20, v15, v21 dst_sel:DWORD dst_unused:UNUSED_PAD src0_sel:WORD_1 src1_sel:DWORD
	v_add_f16_e32 v12, v15, v12
	;; [unrolled: 8-line block ×3, first 2 shown]
	v_pk_fma_f16 v15, v46, s0, v11 op_sel_hi:[0,1,1]
	v_pk_fma_f16 v11, v46, s0, v11 op_sel_hi:[0,1,1] neg_lo:[0,0,1] neg_hi:[0,0,1]
	v_pk_add_f16 v9, v11, v9
	v_mul_f16_e32 v11, 0xbbeb, v47
	s_mov_b32 s0, 0xb08e
	v_mov_b32_e32 v22, 1
	v_add_f16_sdwa v20, v15, v20 dst_sel:DWORD dst_unused:UNUSED_PAD src0_sel:WORD_1 src1_sel:DWORD
	v_add_f16_e32 v12, v15, v12
	v_fma_f16 v15, v46, s0, v11
	v_mul_u32_u24_e32 v21, 0x1e4, v43
	v_lshlrev_b32_sdwa v22, v22, v44 dst_sel:DWORD dst_unused:UNUSED_PAD src0_sel:DWORD src1_sel:BYTE_0
	v_add_f16_e32 v15, v15, v45
	v_fma_f16 v11, v46, s0, -v11
	v_add3_u32 v41, 0, v21, v22
	v_add_f16_e32 v11, v11, v42
	ds_write_b16 v41, v24
	ds_write_b16 v41, v48 offset:44
	ds_write_b16 v41, v50 offset:88
	;; [unrolled: 1-line block ×7, first 2 shown]
	ds_write_b16_d16_hi v41, v9 offset:352
	ds_write_b16 v41, v10 offset:396
	ds_write_b16_d16_hi v41, v10 offset:440
	s_waitcnt lgkmcnt(0)
	s_barrier
	ds_read_u16 v15, v0
	ds_read_u16 v21, v0 offset:484
	ds_read_u16 v20, v0 offset:968
	;; [unrolled: 1-line block ×6, first 2 shown]
	s_movk_i32 s0, 0x58
	v_cmp_gt_u32_e64 s[0:1], s0, v7
                                        ; implicit-def: $vgpr11
                                        ; implicit-def: $vgpr12
	s_and_saveexec_b64 s[4:5], s[0:1]
	s_cbranch_execz .LBB0_23
; %bb.22:
	ds_read_u16 v9, v0 offset:308
	ds_read_u16 v10, v0 offset:792
	;; [unrolled: 1-line block ×7, first 2 shown]
	s_mov_b32 s22, 0x5040100
	s_waitcnt lgkmcnt(5)
	v_perm_b32 v9, v10, v9, s22
	s_waitcnt lgkmcnt(3)
	v_perm_b32 v10, v43, v42, s22
.LBB0_23:
	s_or_b64 exec, exec, s[4:5]
	v_add_f16_e32 v42, v13, v36
	v_add_f16_e32 v42, v42, v32
	;; [unrolled: 1-line block ×10, first 2 shown]
	v_sub_f16_e32 v34, v34, v39
	v_mul_f16_e32 v39, 0xbbad, v36
	s_movk_i32 s4, 0x3482
	v_add_f16_e32 v32, v32, v38
	v_add_f16_e32 v42, v42, v40
	v_fma_f16 v40, v34, s4, v39
	v_sub_f16_e32 v31, v31, v37
	v_mul_f16_e32 v37, 0x3abb, v32
	s_mov_b32 s4, 0xb853
	v_add_f16_e32 v29, v29, v35
	v_fma_f16 v38, v31, s4, v37
	v_sub_f16_e32 v27, v27, v33
	v_mul_f16_e32 v33, 0xb93d, v29
	s_movk_i32 s4, 0x3a0c
	v_add_f16_e32 v26, v26, v30
	v_fma_f16 v35, v27, s4, v33
	v_sub_f16_e32 v19, v19, v28
	v_mul_f16_e32 v28, 0x36a6, v26
	s_mov_b32 s4, 0xbb47
	v_add_f16_e32 v40, v13, v40
	v_fma_f16 v30, v19, s4, v28
	s_mov_b32 s4, 0xb08e3abb
	v_fma_f16 v39, v34, s6, v39
	v_add_f16_e32 v38, v38, v40
	v_sub_f16_e32 v17, v14, v17
	v_pk_mul_f16 v14, v36, s4 op_sel_hi:[0,1]
	s_mov_b32 s4, 0xbbebb853
	v_add_f16_e32 v39, v13, v39
	v_fma_f16 v37, v31, s7, v37
	v_add_f16_e32 v35, v35, v38
	v_add_f16_e32 v16, v16, v18
	v_pk_fma_f16 v18, v34, s4, v14 op_sel_hi:[0,1,1] neg_lo:[1,0,0] neg_hi:[1,0,0]
	v_pk_fma_f16 v14, v34, s4, v14 op_sel_hi:[0,1,1]
	s_mov_b32 s4, 0xbbad36a6
	v_add_f16_e32 v37, v37, v39
	v_fma_f16 v33, v27, s10, v33
	v_add_f16_e32 v30, v30, v35
	v_pk_mul_f16 v35, v32, s4 op_sel_hi:[0,1]
	s_mov_b32 s4, 0x3482bb47
	v_add_f16_e32 v33, v33, v37
	v_fma_f16 v28, v19, s21, v28
	v_pk_add_f16 v14, v13, v14 op_sel_hi:[0,1]
	v_pk_fma_f16 v37, v31, s4, v35 op_sel_hi:[0,1,1] neg_lo:[1,0,0] neg_hi:[1,0,0]
	v_pk_fma_f16 v35, v31, s4, v35 op_sel_hi:[0,1,1]
	s_mov_b32 s4, 0x36a6b08e
	v_add_f16_e32 v28, v28, v33
	v_add_f16_e32 v33, v13, v18
	v_add_f16_sdwa v18, v13, v18 dst_sel:DWORD dst_unused:UNUSED_PAD src0_sel:DWORD src1_sel:WORD_1
	v_pk_add_f16 v14, v35, v14
	v_pk_mul_f16 v35, v29, s4 op_sel_hi:[0,1]
	s_mov_b32 s4, 0x3b47bbeb
	v_add_f16_e32 v33, v37, v33
	v_add_f16_sdwa v18, v37, v18 dst_sel:DWORD dst_unused:UNUSED_PAD src0_sel:WORD_1 src1_sel:DWORD
	v_pk_fma_f16 v37, v27, s4, v35 op_sel_hi:[0,1,1] neg_lo:[1,0,0] neg_hi:[1,0,0]
	v_pk_fma_f16 v35, v27, s4, v35 op_sel_hi:[0,1,1]
	s_mov_b32 s4, 0x3abbb93d
	v_pk_add_f16 v14, v35, v14
	v_pk_mul_f16 v35, v26, s4 op_sel_hi:[0,1]
	s_mov_b32 s4, 0xb853ba0c
	v_add_f16_e32 v33, v37, v33
	v_add_f16_sdwa v18, v37, v18 dst_sel:DWORD dst_unused:UNUSED_PAD src0_sel:WORD_1 src1_sel:DWORD
	v_pk_fma_f16 v37, v19, s4, v35 op_sel_hi:[0,1,1] neg_lo:[1,0,0] neg_hi:[1,0,0]
	v_pk_fma_f16 v35, v19, s4, v35 op_sel_hi:[0,1,1]
	s_mov_b32 s4, 0xb93dbbad
	v_pk_add_f16 v14, v35, v14
	v_pk_mul_f16 v35, v16, s4 op_sel_hi:[0,1]
	s_mov_b32 s4, 0xba0cb482
	v_add_f16_e32 v33, v37, v33
	v_add_f16_sdwa v18, v37, v18 dst_sel:DWORD dst_unused:UNUSED_PAD src0_sel:WORD_1 src1_sel:DWORD
	v_pk_fma_f16 v37, v17, s4, v35 op_sel_hi:[0,1,1] neg_lo:[1,0,0] neg_hi:[1,0,0]
	v_pk_fma_f16 v35, v17, s4, v35 op_sel_hi:[0,1,1]
	v_pk_add_f16 v14, v35, v14
	v_pk_mul_f16 v35, v36, s16 op_sel_hi:[0,1]
	v_pk_fma_f16 v36, v34, s13, v35 op_sel_hi:[0,1,1] neg_lo:[1,0,0] neg_hi:[1,0,0]
	v_pk_fma_f16 v34, v34, s13, v35 op_sel_hi:[0,1,1]
	v_pk_mul_f16 v32, v32, s18 op_sel_hi:[0,1]
	v_add_f16_e32 v33, v37, v33
	v_add_f16_sdwa v18, v37, v18 dst_sel:DWORD dst_unused:UNUSED_PAD src0_sel:WORD_1 src1_sel:DWORD
	v_add_f16_sdwa v37, v13, v36 dst_sel:DWORD dst_unused:UNUSED_PAD src0_sel:DWORD src1_sel:WORD_1
	v_add_f16_e32 v36, v13, v36
	v_pk_add_f16 v13, v13, v34 op_sel_hi:[0,1]
	v_pk_fma_f16 v34, v31, s17, v32 op_sel_hi:[0,1,1] neg_lo:[1,0,0] neg_hi:[1,0,0]
	v_pk_fma_f16 v31, v31, s17, v32 op_sel_hi:[0,1,1]
	v_pk_mul_f16 v29, v29, s19 op_sel_hi:[0,1]
	s_mov_b32 s4, 0x3482b853
	v_pk_add_f16 v13, v31, v13
	v_pk_fma_f16 v31, v27, s4, v29 op_sel_hi:[0,1,1] neg_lo:[1,0,0] neg_hi:[1,0,0]
	v_pk_fma_f16 v27, v27, s4, v29 op_sel_hi:[0,1,1]
	v_pk_mul_f16 v26, v26, s12 op_sel_hi:[0,1]
	s_mov_b32 s4, 0x3bebb482
	v_pk_add_f16 v13, v27, v13
	v_pk_fma_f16 v27, v19, s4, v26 op_sel_hi:[0,1,1] neg_lo:[1,0,0] neg_hi:[1,0,0]
	v_pk_fma_f16 v19, v19, s4, v26 op_sel_hi:[0,1,1]
	v_pk_add_f16 v13, v19, v13
	v_pk_mul_f16 v19, v16, s11 op_sel_hi:[0,1]
	s_mov_b32 s4, 0x38533b47
	v_add_f16_sdwa v35, v34, v37 dst_sel:DWORD dst_unused:UNUSED_PAD src0_sel:WORD_1 src1_sel:DWORD
	v_add_f16_e32 v34, v34, v36
	v_pk_fma_f16 v26, v17, s4, v19 op_sel_hi:[0,1,1] neg_lo:[1,0,0] neg_hi:[1,0,0]
	v_pk_fma_f16 v19, v17, s4, v19 op_sel_hi:[0,1,1]
	v_mul_f16_e32 v16, 0xb08e, v16
	s_movk_i32 s4, 0x3beb
	v_add_f16_sdwa v32, v31, v35 dst_sel:DWORD dst_unused:UNUSED_PAD src0_sel:WORD_1 src1_sel:DWORD
	v_add_f16_e32 v31, v31, v34
	v_pk_add_f16 v13, v19, v13
	v_fma_f16 v19, v17, s4, v16
	v_fma_f16 v16, v17, s20, v16
	v_add_f16_sdwa v29, v27, v32 dst_sel:DWORD dst_unused:UNUSED_PAD src0_sel:WORD_1 src1_sel:DWORD
	v_add_f16_e32 v27, v27, v31
	v_add_f16_e32 v16, v16, v28
	v_add_f16_sdwa v29, v26, v29 dst_sel:DWORD dst_unused:UNUSED_PAD src0_sel:WORD_1 src1_sel:DWORD
	v_add_f16_e32 v26, v26, v27
	v_add_f16_e32 v19, v19, v30
	s_waitcnt lgkmcnt(0)
	s_barrier
	ds_write_b16 v41, v42
	ds_write_b16 v41, v33 offset:44
	ds_write_b16 v41, v29 offset:88
	;; [unrolled: 1-line block ×7, first 2 shown]
	v_lshrrev_b32_e32 v16, 16, v14
	v_lshrrev_b32_e32 v17, 16, v13
	ds_write_b16 v41, v16 offset:352
	ds_write_b16 v41, v17 offset:396
	;; [unrolled: 1-line block ×3, first 2 shown]
	s_waitcnt lgkmcnt(0)
	s_barrier
	ds_read_u16 v26, v0
	ds_read_u16 v28, v0 offset:484
	ds_read_u16 v27, v0 offset:968
	;; [unrolled: 1-line block ×6, first 2 shown]
                                        ; implicit-def: $vgpr18
                                        ; implicit-def: $vgpr19
	s_and_saveexec_b64 s[4:5], s[0:1]
	s_cbranch_execz .LBB0_25
; %bb.24:
	ds_read_u16 v13, v0 offset:308
	ds_read_u16 v16, v0 offset:792
	;; [unrolled: 1-line block ×7, first 2 shown]
.LBB0_25:
	s_or_b64 exec, exec, s[4:5]
	s_and_saveexec_b64 s[4:5], vcc
	s_cbranch_execz .LBB0_28
; %bb.26:
	v_mul_u32_u24_e32 v0, 6, v7
	v_lshlrev_b32_e32 v0, 2, v0
	global_load_dwordx4 v[33:36], v0, s[8:9] offset:924
	global_load_dwordx2 v[37:38], v0, s[8:9] offset:940
	v_mul_lo_u32 v0, s3, v3
	v_mul_lo_u32 v39, s2, v4
	v_mad_u64_u32 v[3:4], s[2:3], s2, v3, 0
	s_mov_b32 s3, 0xb574
	s_movk_i32 s6, 0x3a52
	v_add3_u32 v4, v4, v39, v0
	s_mov_b32 s2, 0xb70e
	s_mov_b32 s7, 0xbb00
	;; [unrolled: 1-line block ×3, first 2 shown]
	s_movk_i32 s11, 0x39e0
	s_mov_b32 s12, 0x43b3d5b
	s_mov_b32 s4, 0xbcab
	v_lshlrev_b64 v[3:4], 2, v[3:4]
	s_movk_i32 s5, 0x2b26
	v_add_co_u32_e32 v3, vcc, s14, v3
	s_waitcnt vmcnt(1)
	v_lshrrev_b32_e32 v0, 16, v33
	v_lshrrev_b32_e32 v39, 16, v34
	v_lshrrev_b32_e32 v40, 16, v35
	v_lshrrev_b32_e32 v41, 16, v36
	v_mul_f16_e32 v42, v21, v33
	s_waitcnt vmcnt(0)
	v_lshrrev_b32_e32 v43, 16, v37
	v_lshrrev_b32_e32 v44, 16, v38
	v_mul_f16_e32 v45, v25, v38
	v_mul_f16_e32 v46, v23, v36
	v_mul_f16_e32 v47, v22, v35
	v_mul_f16_e32 v48, v20, v34
	v_mul_f16_e32 v49, v24, v37
	s_waitcnt lgkmcnt(5)
	v_fma_f16 v42, v28, v0, v42
	s_waitcnt lgkmcnt(0)
	v_fma_f16 v45, v32, v44, v45
	v_fma_f16 v46, v30, v41, v46
	;; [unrolled: 1-line block ×5, first 2 shown]
	v_mul_f16_e32 v25, v25, v44
	v_mul_f16_e32 v0, v21, v0
	;; [unrolled: 1-line block ×6, first 2 shown]
	v_sub_f16_e32 v39, v46, v47
	v_sub_f16_e32 v40, v48, v49
	v_fma_f16 v25, v32, v38, -v25
	v_fma_f16 v0, v28, v33, -v0
	;; [unrolled: 1-line block ×6, first 2 shown]
	v_add_f16_e32 v27, v42, v45
	v_add_f16_e32 v29, v48, v49
	;; [unrolled: 1-line block ×3, first 2 shown]
	v_sub_f16_e32 v31, v39, v40
	v_add_f16_e32 v33, v0, v25
	v_add_f16_e32 v34, v22, v21
	;; [unrolled: 1-line block ×4, first 2 shown]
	v_sub_f16_e32 v0, v0, v25
	v_sub_f16_e32 v21, v22, v21
	;; [unrolled: 1-line block ×4, first 2 shown]
	v_add_f16_e32 v32, v39, v40
	v_sub_f16_e32 v36, v27, v28
	v_sub_f16_e32 v37, v28, v29
	v_mul_f16_e32 v22, 0x3846, v31
	v_sub_f16_e32 v31, v34, v35
	v_add_f16_e32 v28, v28, v38
	v_sub_f16_e32 v38, v0, v21
	v_sub_f16_e32 v41, v21, v20
	v_add_f16_e32 v21, v21, v20
	v_sub_f16_e32 v30, v24, v39
	v_add_f16_e32 v23, v24, v32
	;; [unrolled: 2-line block ×3, first 2 shown]
	v_mul_f16_e32 v37, 0x2b26, v37
	v_mul_f16_e32 v31, 0x2b26, v31
	v_add_f16_e32 v21, v0, v21
	v_sub_f16_e32 v0, v20, v0
	v_mul_f16_e32 v39, 0x3a52, v36
	v_fma_f16 v42, v30, s3, v22
	v_mul_f16_e32 v43, 0x3a52, v25
	v_add_f16_e32 v32, v34, v32
	v_fma_f16 v34, v36, s6, v37
	v_mul_f16_e32 v36, 0x3846, v41
	v_fma_f16 v25, v25, s6, v31
	s_movk_i32 s6, 0x3574
	v_mul_f16_e32 v20, 0xbb00, v0
	v_fma_f16 v41, v23, s2, v42
	v_fma_f16 v42, v38, s3, v36
	v_sub_f16_e32 v27, v29, v27
	v_fma_f16 v20, v38, s6, -v20
	v_fma_f16 v0, v0, s7, -v36
	v_fma_f16 v42, v21, s2, v42
	v_fma_f16 v29, v27, s10, -v39
	v_fma_f16 v20, v21, s2, v20
	v_fma_f16 v0, v21, s2, v0
	v_fma_f16 v21, v27, s11, -v37
	v_lshrrev_b32_e32 v27, 1, v7
	v_mul_hi_u32 v27, v27, s12
	v_add_f16_e32 v15, v15, v28
	v_fma_f16 v28, v28, s4, v15
	v_sub_f16_e32 v24, v40, v24
	v_add_f16_e32 v21, v21, v28
	v_mul_f16_e32 v40, 0xbb00, v24
	v_fma_f16 v22, v24, s7, -v22
	v_add_f16_e32 v24, v0, v21
	v_sub_f16_e32 v21, v21, v0
	v_lshrrev_b32_e32 v0, 1, v27
	s_movk_i32 s12, 0xf2
	v_mul_lo_u32 v0, v0, s12
	v_add_f16_e32 v29, v29, v28
	v_sub_f16_e32 v38, v29, v20
	v_add_f16_e32 v20, v20, v29
	v_sub_u32_e32 v29, v7, v0
	v_mov_b32_e32 v0, s15
	v_addc_co_u32_e32 v4, vcc, v0, v4, vcc
	v_lshlrev_b64 v[0:1], 2, v[1:2]
	v_add_f16_e32 v26, v26, v32
	v_add_co_u32_e32 v2, vcc, v3, v0
	v_fma_f16 v32, v32, s4, v26
	v_sub_f16_e32 v33, v35, v33
	v_addc_co_u32_e32 v3, vcc, v4, v1, vcc
	v_lshlrev_b32_e32 v0, 2, v29
	v_add_f16_e32 v34, v34, v28
	v_add_f16_e32 v25, v25, v32
	v_fma_f16 v30, v30, s6, -v40
	v_fma_f16 v35, v33, s10, -v43
	v_add_co_u32_e32 v0, vcc, v2, v0
	v_add_f16_e32 v45, v41, v25
	v_fma_f16 v30, v23, s2, v30
	v_add_f16_e32 v35, v35, v32
	v_fma_f16 v31, v33, s11, -v31
	v_sub_f16_e32 v25, v25, v41
	v_add_f16_e32 v27, v42, v34
	v_addc_co_u32_e32 v1, vcc, 0, v3, vcc
	v_pack_b32_f16 v4, v15, v26
	v_add_f16_e32 v31, v31, v32
	v_fma_f16 v22, v23, s2, v22
	v_sub_f16_e32 v28, v35, v30
	global_store_dword v[0:1], v4, off
	v_pack_b32_f16 v4, v27, v25
	v_sub_f16_e32 v23, v31, v22
	v_add_f16_e32 v22, v22, v31
	global_store_dword v[0:1], v4, off offset:968
	v_pack_b32_f16 v4, v20, v28
	global_store_dword v[0:1], v4, off offset:1936
	v_pack_b32_f16 v4, v21, v22
	;; [unrolled: 2-line block ×3, first 2 shown]
	v_add_f16_e32 v40, v30, v35
	global_store_dword v[0:1], v4, off offset:3872
	v_add_co_u32_e32 v0, vcc, 0x1000, v0
	v_sub_f16_e32 v44, v34, v42
	v_pack_b32_f16 v4, v38, v40
	v_addc_co_u32_e32 v1, vcc, 0, v1, vcc
	global_store_dword v[0:1], v4, off offset:744
	v_pack_b32_f16 v4, v44, v45
	global_store_dword v[0:1], v4, off offset:1712
	v_add_u32_e32 v0, 0x9a, v7
	v_cmp_gt_u32_e32 vcc, s12, v0
	s_and_b64 exec, exec, vcc
	s_cbranch_execz .LBB0_28
; %bb.27:
	v_add_u32_e32 v1, 0xffffffa8, v7
	v_cndmask_b32_e64 v1, v1, v5, s[0:1]
	v_mul_i32_i24_e32 v4, 6, v1
	v_mov_b32_e32 v5, 0
	v_lshlrev_b64 v[20:21], 2, v[4:5]
	v_mov_b32_e32 v1, s9
	v_add_co_u32_e32 v24, vcc, s8, v20
	v_addc_co_u32_e32 v25, vcc, v1, v21, vcc
	global_load_dwordx4 v[20:23], v[24:25], off offset:924
	global_load_dwordx2 v[26:27], v[24:25], off offset:940
	v_lshrrev_b32_e32 v1, 16, v9
	v_lshrrev_b32_e32 v4, 16, v10
	s_waitcnt vmcnt(1)
	v_mul_f16_sdwa v15, v16, v20 dst_sel:DWORD dst_unused:UNUSED_PAD src0_sel:DWORD src1_sel:WORD_1
	v_mul_f16_sdwa v24, v1, v20 dst_sel:DWORD dst_unused:UNUSED_PAD src0_sel:DWORD src1_sel:WORD_1
	;; [unrolled: 1-line block ×4, first 2 shown]
	s_waitcnt vmcnt(0)
	v_mul_f16_sdwa v33, v19, v26 dst_sel:DWORD dst_unused:UNUSED_PAD src0_sel:DWORD src1_sel:WORD_1
	v_mul_f16_sdwa v34, v12, v26 dst_sel:DWORD dst_unused:UNUSED_PAD src0_sel:DWORD src1_sel:WORD_1
	;; [unrolled: 1-line block ×8, first 2 shown]
	v_fma_f16 v1, v1, v20, v15
	v_fma_f16 v15, v16, v20, -v24
	v_fma_f16 v10, v10, v21, v25
	v_fma_f16 v16, v17, v21, -v28
	;; [unrolled: 2-line block ×6, first 2 shown]
	v_add_f16_e32 v19, v1, v11
	v_add_f16_e32 v20, v15, v18
	v_sub_f16_e32 v1, v1, v11
	v_sub_f16_e32 v11, v15, v18
	v_add_f16_e32 v15, v10, v12
	v_add_f16_e32 v18, v16, v17
	v_sub_f16_e32 v10, v10, v12
	v_sub_f16_e32 v12, v16, v17
	;; [unrolled: 4-line block ×4, first 2 shown]
	v_sub_f16_e32 v19, v19, v16
	v_sub_f16_e32 v20, v20, v17
	v_sub_f16_e32 v15, v16, v15
	v_sub_f16_e32 v18, v17, v18
	v_add_f16_e32 v23, v4, v10
	v_sub_f16_e32 v25, v4, v10
	v_sub_f16_e32 v10, v10, v1
	v_add_f16_e32 v8, v16, v8
	v_add_f16_e32 v14, v17, v14
	;; [unrolled: 1-line block ×3, first 2 shown]
	v_sub_f16_e32 v26, v6, v12
	v_sub_f16_e32 v4, v1, v4
	v_add_f16_e32 v1, v23, v1
	v_mul_f16_e32 v16, 0x3a52, v19
	v_mul_f16_e32 v17, 0x3a52, v20
	;; [unrolled: 1-line block ×6, first 2 shown]
	v_add_f16_e32 v9, v9, v8
	v_add_f16_e32 v13, v13, v14
	v_sub_f16_e32 v6, v11, v6
	v_sub_f16_e32 v12, v12, v11
	v_add_f16_e32 v11, v24, v11
	v_mul_f16_e32 v24, 0x3846, v26
	v_fma_f16 v15, v15, s5, v16
	v_fma_f16 v18, v18, s5, v17
	v_fma_f16 v19, v21, s11, -v19
	v_fma_f16 v20, v22, s11, -v20
	;; [unrolled: 1-line block ×4, first 2 shown]
	v_fma_f16 v21, v4, s3, v23
	v_fma_f16 v10, v10, s7, -v23
	v_fma_f16 v4, v4, s6, -v25
	v_fma_f16 v8, v8, s4, v9
	v_fma_f16 v14, v14, s4, v13
	;; [unrolled: 1-line block ×3, first 2 shown]
	v_add_f16_e32 v15, v15, v8
	v_add_f16_e32 v18, v18, v14
	;; [unrolled: 1-line block ×6, first 2 shown]
	v_fma_f16 v16, v1, s2, v21
	v_fma_f16 v10, v1, s2, v10
	;; [unrolled: 1-line block ×4, first 2 shown]
	v_sub_f16_e32 v22, v14, v1
	v_add_f16_e32 v14, v1, v14
	v_mov_b32_e32 v1, v5
	v_mul_f16_e32 v26, 0xbb00, v12
	v_lshlrev_b64 v[0:1], 2, v[0:1]
	v_fma_f16 v6, v6, s6, -v26
	v_fma_f16 v4, v11, s2, v6
	v_add_co_u32_e32 v0, vcc, v2, v0
	v_add_f16_e32 v21, v4, v8
	v_sub_f16_e32 v8, v8, v4
	v_addc_co_u32_e32 v1, vcc, v3, v1, vcc
	v_pack_b32_f16 v4, v9, v13
	global_store_dword v[0:1], v4, off
	v_add_u32_e32 v4, 0x18c, v7
	v_lshlrev_b64 v[0:1], 2, v[4:5]
	v_fma_f16 v12, v12, s7, -v24
	v_fma_f16 v12, v11, s2, v12
	v_add_f16_e32 v6, v17, v15
	v_sub_f16_e32 v11, v18, v16
	v_add_co_u32_e32 v0, vcc, v2, v0
	v_addc_co_u32_e32 v1, vcc, v3, v1, vcc
	v_pack_b32_f16 v4, v6, v11
	global_store_dword v[0:1], v4, off
	v_add_u32_e32 v4, 0x27e, v7
	v_lshlrev_b64 v[0:1], 2, v[4:5]
	v_pack_b32_f16 v4, v21, v22
	v_add_co_u32_e32 v0, vcc, v2, v0
	v_addc_co_u32_e32 v1, vcc, v3, v1, vcc
	global_store_dword v[0:1], v4, off
	v_add_u32_e32 v4, 0x370, v7
	v_lshlrev_b64 v[0:1], 2, v[4:5]
	v_sub_f16_e32 v23, v19, v12
	v_add_f16_e32 v24, v10, v20
	v_add_co_u32_e32 v0, vcc, v2, v0
	v_addc_co_u32_e32 v1, vcc, v3, v1, vcc
	v_pack_b32_f16 v4, v23, v24
	global_store_dword v[0:1], v4, off
	v_add_u32_e32 v4, 0x462, v7
	v_lshlrev_b64 v[0:1], 2, v[4:5]
	v_add_f16_e32 v12, v12, v19
	v_sub_f16_e32 v10, v20, v10
	v_add_co_u32_e32 v0, vcc, v2, v0
	v_addc_co_u32_e32 v1, vcc, v3, v1, vcc
	v_pack_b32_f16 v4, v12, v10
	global_store_dword v[0:1], v4, off
	v_add_u32_e32 v4, 0x554, v7
	v_lshlrev_b64 v[0:1], 2, v[4:5]
	v_pack_b32_f16 v4, v8, v14
	v_add_co_u32_e32 v0, vcc, v2, v0
	v_addc_co_u32_e32 v1, vcc, v3, v1, vcc
	global_store_dword v[0:1], v4, off
	v_add_u32_e32 v4, 0x646, v7
	v_lshlrev_b64 v[0:1], 2, v[4:5]
	v_sub_f16_e32 v15, v15, v17
	v_add_f16_e32 v16, v16, v18
	v_add_co_u32_e32 v0, vcc, v2, v0
	v_addc_co_u32_e32 v1, vcc, v3, v1, vcc
	v_pack_b32_f16 v2, v15, v16
	global_store_dword v[0:1], v2, off
.LBB0_28:
	s_endpgm
	.section	.rodata,"a",@progbits
	.p2align	6, 0x0
	.amdhsa_kernel fft_rtc_back_len1694_factors_11_2_11_7_wgs_154_tpt_154_halfLds_half_op_CI_CI_unitstride_sbrr_dirReg
		.amdhsa_group_segment_fixed_size 0
		.amdhsa_private_segment_fixed_size 0
		.amdhsa_kernarg_size 104
		.amdhsa_user_sgpr_count 6
		.amdhsa_user_sgpr_private_segment_buffer 1
		.amdhsa_user_sgpr_dispatch_ptr 0
		.amdhsa_user_sgpr_queue_ptr 0
		.amdhsa_user_sgpr_kernarg_segment_ptr 1
		.amdhsa_user_sgpr_dispatch_id 0
		.amdhsa_user_sgpr_flat_scratch_init 0
		.amdhsa_user_sgpr_private_segment_size 0
		.amdhsa_uses_dynamic_stack 0
		.amdhsa_system_sgpr_private_segment_wavefront_offset 0
		.amdhsa_system_sgpr_workgroup_id_x 1
		.amdhsa_system_sgpr_workgroup_id_y 0
		.amdhsa_system_sgpr_workgroup_id_z 0
		.amdhsa_system_sgpr_workgroup_info 0
		.amdhsa_system_vgpr_workitem_id 0
		.amdhsa_next_free_vgpr 65
		.amdhsa_next_free_sgpr 42
		.amdhsa_reserve_vcc 1
		.amdhsa_reserve_flat_scratch 0
		.amdhsa_float_round_mode_32 0
		.amdhsa_float_round_mode_16_64 0
		.amdhsa_float_denorm_mode_32 3
		.amdhsa_float_denorm_mode_16_64 3
		.amdhsa_dx10_clamp 1
		.amdhsa_ieee_mode 1
		.amdhsa_fp16_overflow 0
		.amdhsa_exception_fp_ieee_invalid_op 0
		.amdhsa_exception_fp_denorm_src 0
		.amdhsa_exception_fp_ieee_div_zero 0
		.amdhsa_exception_fp_ieee_overflow 0
		.amdhsa_exception_fp_ieee_underflow 0
		.amdhsa_exception_fp_ieee_inexact 0
		.amdhsa_exception_int_div_zero 0
	.end_amdhsa_kernel
	.text
.Lfunc_end0:
	.size	fft_rtc_back_len1694_factors_11_2_11_7_wgs_154_tpt_154_halfLds_half_op_CI_CI_unitstride_sbrr_dirReg, .Lfunc_end0-fft_rtc_back_len1694_factors_11_2_11_7_wgs_154_tpt_154_halfLds_half_op_CI_CI_unitstride_sbrr_dirReg
                                        ; -- End function
	.section	.AMDGPU.csdata,"",@progbits
; Kernel info:
; codeLenInByte = 9720
; NumSgprs: 46
; NumVgprs: 65
; ScratchSize: 0
; MemoryBound: 0
; FloatMode: 240
; IeeeMode: 1
; LDSByteSize: 0 bytes/workgroup (compile time only)
; SGPRBlocks: 5
; VGPRBlocks: 16
; NumSGPRsForWavesPerEU: 46
; NumVGPRsForWavesPerEU: 65
; Occupancy: 3
; WaveLimiterHint : 1
; COMPUTE_PGM_RSRC2:SCRATCH_EN: 0
; COMPUTE_PGM_RSRC2:USER_SGPR: 6
; COMPUTE_PGM_RSRC2:TRAP_HANDLER: 0
; COMPUTE_PGM_RSRC2:TGID_X_EN: 1
; COMPUTE_PGM_RSRC2:TGID_Y_EN: 0
; COMPUTE_PGM_RSRC2:TGID_Z_EN: 0
; COMPUTE_PGM_RSRC2:TIDIG_COMP_CNT: 0
	.type	__hip_cuid_d589f4103ffaab33,@object ; @__hip_cuid_d589f4103ffaab33
	.section	.bss,"aw",@nobits
	.globl	__hip_cuid_d589f4103ffaab33
__hip_cuid_d589f4103ffaab33:
	.byte	0                               ; 0x0
	.size	__hip_cuid_d589f4103ffaab33, 1

	.ident	"AMD clang version 19.0.0git (https://github.com/RadeonOpenCompute/llvm-project roc-6.4.0 25133 c7fe45cf4b819c5991fe208aaa96edf142730f1d)"
	.section	".note.GNU-stack","",@progbits
	.addrsig
	.addrsig_sym __hip_cuid_d589f4103ffaab33
	.amdgpu_metadata
---
amdhsa.kernels:
  - .args:
      - .actual_access:  read_only
        .address_space:  global
        .offset:         0
        .size:           8
        .value_kind:     global_buffer
      - .offset:         8
        .size:           8
        .value_kind:     by_value
      - .actual_access:  read_only
        .address_space:  global
        .offset:         16
        .size:           8
        .value_kind:     global_buffer
      - .actual_access:  read_only
        .address_space:  global
        .offset:         24
        .size:           8
        .value_kind:     global_buffer
      - .actual_access:  read_only
        .address_space:  global
        .offset:         32
        .size:           8
        .value_kind:     global_buffer
      - .offset:         40
        .size:           8
        .value_kind:     by_value
      - .actual_access:  read_only
        .address_space:  global
        .offset:         48
        .size:           8
        .value_kind:     global_buffer
      - .actual_access:  read_only
        .address_space:  global
        .offset:         56
        .size:           8
        .value_kind:     global_buffer
      - .offset:         64
        .size:           4
        .value_kind:     by_value
      - .actual_access:  read_only
        .address_space:  global
        .offset:         72
        .size:           8
        .value_kind:     global_buffer
      - .actual_access:  read_only
        .address_space:  global
        .offset:         80
        .size:           8
        .value_kind:     global_buffer
      - .actual_access:  read_only
        .address_space:  global
        .offset:         88
        .size:           8
        .value_kind:     global_buffer
      - .actual_access:  write_only
        .address_space:  global
        .offset:         96
        .size:           8
        .value_kind:     global_buffer
    .group_segment_fixed_size: 0
    .kernarg_segment_align: 8
    .kernarg_segment_size: 104
    .language:       OpenCL C
    .language_version:
      - 2
      - 0
    .max_flat_workgroup_size: 154
    .name:           fft_rtc_back_len1694_factors_11_2_11_7_wgs_154_tpt_154_halfLds_half_op_CI_CI_unitstride_sbrr_dirReg
    .private_segment_fixed_size: 0
    .sgpr_count:     46
    .sgpr_spill_count: 0
    .symbol:         fft_rtc_back_len1694_factors_11_2_11_7_wgs_154_tpt_154_halfLds_half_op_CI_CI_unitstride_sbrr_dirReg.kd
    .uniform_work_group_size: 1
    .uses_dynamic_stack: false
    .vgpr_count:     65
    .vgpr_spill_count: 0
    .wavefront_size: 64
amdhsa.target:   amdgcn-amd-amdhsa--gfx906
amdhsa.version:
  - 1
  - 2
...

	.end_amdgpu_metadata
